;; amdgpu-corpus repo=zjin-lcf/HeCBench kind=compiled arch=gfx90a opt=O3
	.text
	.amdgcn_target "amdgcn-amd-amdhsa--gfx90a"
	.amdhsa_code_object_version 6
	.protected	_Z13maskSequencesPhPKdPKhiiddddddi ; -- Begin function _Z13maskSequencesPhPKdPKhiiddddddi
	.globl	_Z13maskSequencesPhPKdPKhiiddddddi
	.p2align	8
	.type	_Z13maskSequencesPhPKdPKhiiddddddi,@function
_Z13maskSequencesPhPKdPKhiiddddddi:     ; @_Z13maskSequencesPhPKdPKhiiddddddi
; %bb.0:
	s_load_dword s6, s[4:5], 0x64
	s_load_dword s7, s[4:5], 0x50
	s_add_u32 s0, s0, s9
	s_addc_u32 s1, s1, 0
	s_waitcnt lgkmcnt(0)
	s_and_b32 s6, s6, 0xffff
	s_mul_i32 s8, s8, s6
	v_add_u32_e32 v10, s8, v0
	v_cmp_gt_i32_e32 vcc, s7, v10
	s_and_saveexec_b64 s[6:7], vcc
	s_cbranch_execz .LBB0_48
; %bb.1:
	s_load_dwordx2 s[6:7], s[4:5], 0x30
	s_load_dwordx2 s[10:11], s[4:5], 0x18
	s_load_dwordx4 s[12:15], s[4:5], 0x20
	s_waitcnt lgkmcnt(0)
	v_div_scale_f64 v[0:1], s[8:9], s[6:7], s[6:7], 1.0
	v_rcp_f64_e32 v[2:3], v[0:1]
	v_div_scale_f64 v[4:5], vcc, 1.0, s[6:7], 1.0
	v_fma_f64 v[6:7], -v[0:1], v[2:3], 1.0
	v_fmac_f64_e32 v[2:3], v[2:3], v[6:7]
	v_fma_f64 v[6:7], -v[0:1], v[2:3], 1.0
	v_fmac_f64_e32 v[2:3], v[2:3], v[6:7]
	v_mul_f64 v[6:7], v[4:5], v[2:3]
	v_fma_f64 v[0:1], -v[0:1], v[6:7], v[4:5]
	v_div_fmas_f64 v[0:1], v[0:1], v[2:3], v[6:7]
	v_div_fixup_f64 v[0:1], v[0:1], s[6:7], 1.0
	v_cmp_nlg_f64_e32 vcc, 1.0, v[0:1]
	v_cvt_f64_i32_e32 v[2:3], s11
	s_cbranch_vccnz .LBB0_24
; %bb.2:
	v_mov_b32_e32 v11, 0x3ff00000
	v_cmp_neq_f64_e32 vcc, 1.0, v[0:1]
	v_cndmask_b32_e32 v7, v11, v3, vcc
	v_cndmask_b32_e32 v6, 0, v2, vcc
	v_cmp_neq_f64_e32 vcc, 0, v[6:7]
	v_cndmask_b32_e32 v9, v11, v1, vcc
	v_cndmask_b32_e32 v8, 0, v0, vcc
	v_frexp_mant_f64_e64 v[12:13], |v[8:9]|
	s_mov_b32 s9, 0x3fe55555
	s_mov_b32 s8, 0x55555555
	v_cmp_gt_f64_e32 vcc, s[8:9], v[12:13]
	s_and_b64 s[6:7], vcc, exec
	s_mov_b32 s16, 0
	s_cselect_b32 s17, 2.0, 0x3ff00000
	v_frexp_exp_i32_f64_e32 v14, v[8:9]
	v_mul_f64 v[12:13], v[12:13], s[16:17]
	v_subbrev_co_u32_e64 v26, s[6:7], 0, v14, vcc
	v_add_f64 v[14:15], v[12:13], 1.0
	v_rcp_f64_e32 v[16:17], v[14:15]
	v_add_f64 v[20:21], v[14:15], -1.0
	v_add_f64 v[18:19], v[12:13], -1.0
	v_add_f64 v[12:13], v[12:13], -v[20:21]
	v_fma_f64 v[20:21], -v[14:15], v[16:17], 1.0
	v_fmac_f64_e32 v[16:17], v[20:21], v[16:17]
	v_fma_f64 v[20:21], -v[14:15], v[16:17], 1.0
	v_fmac_f64_e32 v[16:17], v[20:21], v[16:17]
	v_mul_f64 v[20:21], v[18:19], v[16:17]
	v_mul_f64 v[22:23], v[14:15], v[20:21]
	v_fma_f64 v[14:15], v[20:21], v[14:15], -v[22:23]
	v_fmac_f64_e32 v[14:15], v[20:21], v[12:13]
	v_add_f64 v[12:13], v[22:23], v[14:15]
	v_add_f64 v[24:25], v[18:19], -v[12:13]
	v_add_f64 v[22:23], v[12:13], -v[22:23]
	;; [unrolled: 1-line block ×5, first 2 shown]
	v_add_f64 v[12:13], v[14:15], v[12:13]
	v_add_f64 v[12:13], v[24:25], v[12:13]
	v_mul_f64 v[12:13], v[16:17], v[12:13]
	v_add_f64 v[14:15], v[20:21], v[12:13]
	v_add_f64 v[16:17], v[14:15], -v[20:21]
	v_add_f64 v[12:13], v[12:13], -v[16:17]
	v_mul_f64 v[16:17], v[14:15], v[14:15]
	v_fma_f64 v[18:19], v[14:15], v[14:15], -v[16:17]
	v_add_f64 v[20:21], v[12:13], v[12:13]
	v_fmac_f64_e32 v[18:19], v[14:15], v[20:21]
	v_add_f64 v[20:21], v[16:17], v[18:19]
	v_add_f64 v[16:17], v[20:21], -v[16:17]
	s_mov_b32 s6, 0x4222de17
	v_add_f64 v[16:17], v[18:19], -v[16:17]
	v_mov_b32_e32 v18, 0x968915a9
	v_mov_b32_e32 v19, 0x3fba6564
	s_mov_b32 s7, 0x3fbdee67
	v_fmac_f64_e32 v[18:19], s[6:7], v[20:21]
	v_mov_b32_e32 v22, 0x3abe935a
	v_mov_b32_e32 v23, 0x3fbe25e4
	v_fmac_f64_e32 v[22:23], v[20:21], v[18:19]
	v_mov_b32_e32 v18, 0x47e6c9c2
	v_mov_b32_e32 v19, 0x3fc110ef
	;; [unrolled: 3-line block ×7, first 2 shown]
	v_fmac_f64_e32 v[22:23], v[20:21], v[18:19]
	v_cvt_f64_i32_e32 v[18:19], v26
	s_mov_b32 s7, 0x3fe62e42
	s_mov_b32 s6, 0xfefa39ef
	v_mul_f64 v[24:25], v[18:19], s[6:7]
	v_mul_f64 v[30:31], v[14:15], v[20:21]
	v_fma_f64 v[26:27], v[18:19], s[6:7], -v[24:25]
	s_mov_b32 s17, 0x3c7abc9e
	s_mov_b32 s16, 0x3b39803f
	v_fma_f64 v[32:33], v[20:21], v[14:15], -v[30:31]
	v_fmac_f64_e32 v[26:27], s[16:17], v[18:19]
	v_fmac_f64_e32 v[32:33], v[20:21], v[12:13]
	v_add_f64 v[18:19], v[24:25], v[26:27]
	v_fmac_f64_e32 v[32:33], v[16:17], v[14:15]
	v_add_f64 v[24:25], v[18:19], -v[24:25]
	v_ldexp_f64 v[28:29], v[12:13], 1
	v_add_f64 v[12:13], v[30:31], v[32:33]
	v_add_f64 v[24:25], v[26:27], -v[24:25]
	v_ldexp_f64 v[26:27], v[14:15], 1
	v_add_f64 v[14:15], v[12:13], -v[30:31]
	v_mul_f64 v[30:31], v[20:21], v[22:23]
	v_fma_f64 v[20:21], v[20:21], v[22:23], -v[30:31]
	v_fmac_f64_e32 v[20:21], v[16:17], v[22:23]
	v_add_f64 v[16:17], v[30:31], v[20:21]
	v_add_f64 v[22:23], v[16:17], -v[30:31]
	v_add_f64 v[20:21], v[20:21], -v[22:23]
	v_add_f64 v[22:23], v[16:17], s[8:9]
	s_mov_b32 s9, 0xbfe55555
	v_add_f64 v[30:31], v[22:23], s[8:9]
	s_mov_b32 s8, 0xd5df274d
	s_mov_b32 s9, 0x3c8543b0
	v_add_f64 v[16:17], v[16:17], -v[30:31]
	v_add_f64 v[20:21], v[20:21], s[8:9]
	v_add_f64 v[16:17], v[20:21], v[16:17]
	;; [unrolled: 1-line block ×3, first 2 shown]
	v_add_f64 v[22:23], v[22:23], -v[20:21]
	v_add_f64 v[16:17], v[16:17], v[22:23]
	v_mul_f64 v[22:23], v[12:13], v[20:21]
	v_fma_f64 v[30:31], v[12:13], v[20:21], -v[22:23]
	v_add_f64 v[14:15], v[32:33], -v[14:15]
	v_fmac_f64_e32 v[30:31], v[12:13], v[16:17]
	v_fmac_f64_e32 v[30:31], v[14:15], v[20:21]
	v_add_f64 v[12:13], v[22:23], v[30:31]
	v_add_f64 v[14:15], v[12:13], -v[22:23]
	v_add_f64 v[16:17], v[26:27], v[12:13]
	v_add_f64 v[14:15], v[30:31], -v[14:15]
	v_add_f64 v[20:21], v[16:17], -v[26:27]
	;; [unrolled: 1-line block ×3, first 2 shown]
	v_add_f64 v[14:15], v[28:29], v[14:15]
	v_add_f64 v[12:13], v[14:15], v[12:13]
	;; [unrolled: 1-line block ×3, first 2 shown]
	v_add_f64 v[16:17], v[14:15], -v[16:17]
	v_add_f64 v[12:13], v[12:13], -v[16:17]
	v_add_f64 v[16:17], v[18:19], v[14:15]
	v_add_f64 v[20:21], v[16:17], -v[18:19]
	v_add_f64 v[22:23], v[16:17], -v[20:21]
	;; [unrolled: 1-line block ×4, first 2 shown]
	v_add_f64 v[14:15], v[14:15], v[18:19]
	v_add_f64 v[18:19], v[24:25], v[12:13]
	v_add_f64 v[20:21], v[18:19], -v[24:25]
	v_add_f64 v[14:15], v[18:19], v[14:15]
	v_add_f64 v[22:23], v[18:19], -v[20:21]
	;; [unrolled: 2-line block ×3, first 2 shown]
	v_add_f64 v[12:13], v[12:13], -v[20:21]
	v_add_f64 v[16:17], v[18:19], -v[16:17]
	v_add_f64 v[12:13], v[12:13], v[22:23]
	v_add_f64 v[14:15], v[14:15], -v[16:17]
	v_add_f64 v[12:13], v[12:13], v[14:15]
	v_add_f64 v[14:15], v[18:19], v[12:13]
	v_add_f64 v[16:17], v[14:15], -v[18:19]
	v_add_f64 v[12:13], v[12:13], -v[16:17]
	v_mul_f64 v[16:17], v[6:7], v[14:15]
	v_fma_f64 v[14:15], v[6:7], v[14:15], -v[16:17]
	v_fmac_f64_e32 v[14:15], v[6:7], v[12:13]
	s_movk_i32 s20, 0x204
	v_add_f64 v[12:13], v[16:17], v[14:15]
	v_cmp_class_f64_e64 vcc, v[16:17], s20
	s_mov_b32 s18, 0x652b82fe
	v_add_f64 v[18:19], v[12:13], -v[16:17]
	v_cndmask_b32_e32 v13, v13, v17, vcc
	v_cndmask_b32_e32 v12, v12, v16, vcc
	s_mov_b32 s19, 0x3ff71547
	v_mul_f64 v[16:17], v[12:13], s[18:19]
	v_rndne_f64_e32 v[16:17], v[16:17]
	s_mov_b32 s7, 0xbfe62e42
	v_add_f64 v[14:15], v[14:15], -v[18:19]
	v_fma_f64 v[18:19], s[6:7], v[16:17], v[12:13]
	s_mov_b32 s17, 0xbc7abc9e
	s_mov_b32 s6, 0x6a5dcb37
	v_fmac_f64_e32 v[18:19], s[16:17], v[16:17]
	v_mov_b32_e32 v20, 0xfca7ab0c
	v_mov_b32_e32 v21, 0x3e928af3
	s_mov_b32 s7, 0x3e5ade15
	v_fmac_f64_e32 v[20:21], s[6:7], v[18:19]
	v_mov_b32_e32 v22, 0x623fde64
	v_mov_b32_e32 v23, 0x3ec71dee
	v_fmac_f64_e32 v[22:23], v[18:19], v[20:21]
	v_mov_b32_e32 v20, 0x7c89e6b0
	v_mov_b32_e32 v21, 0x3efa0199
	;; [unrolled: 3-line block ×7, first 2 shown]
	s_mov_b32 s8, 0
	v_fmac_f64_e32 v[22:23], v[18:19], v[20:21]
	v_mov_b32_e32 v20, 11
	v_mov_b32_e32 v21, 0x3fe00000
	s_mov_b32 s9, 0x7ff00000
	v_fmac_f64_e32 v[20:21], v[18:19], v[22:23]
	s_mov_b32 s6, 0
	v_cmp_neq_f64_e64 vcc, |v[12:13]|, s[8:9]
	v_fma_f64 v[20:21], v[18:19], v[20:21], 1.0
	s_mov_b32 s7, 0x40900000
	v_cndmask_b32_e32 v15, 0, v15, vcc
	v_cndmask_b32_e32 v14, 0, v14, vcc
	v_fma_f64 v[18:19], v[18:19], v[20:21], 1.0
	v_cvt_i32_f64_e32 v16, v[16:17]
	v_cmp_lt_f64_e32 vcc, s[6:7], v[12:13]
	s_mov_b32 s6, 0
	v_ldexp_f64 v[16:17], v[18:19], v16
	v_mov_b32_e32 v19, 0x7ff00000
	s_mov_b32 s7, 0xc090cc00
	v_cndmask_b32_e64 v18, v16, 0, vcc
	v_cndmask_b32_e32 v19, v17, v19, vcc
	v_cmp_ngt_f64_e64 s[6:7], s[6:7], v[12:13]
	v_and_b32_e32 v17, 0x7fffffff, v17
	v_cndmask_b32_e64 v13, 0, v19, s[6:7]
	v_cndmask_b32_e64 v12, 0, v18, s[6:7]
	v_cmp_eq_f64_e64 s[8:9], s[8:9], v[16:17]
	v_pk_mov_b32 v[18:19], v[12:13], v[12:13] op_sel:[0,1]
	s_or_b64 s[8:9], vcc, s[8:9]
	v_fmac_f64_e32 v[18:19], v[18:19], v[14:15]
	s_and_b64 vcc, s[6:7], s[8:9]
	v_mul_f64 v[14:15], v[6:7], 0.5
	v_cndmask_b32_e32 v18, v18, v12, vcc
	v_cndmask_b32_e32 v19, v19, v13, vcc
	v_trunc_f64_e32 v[12:13], v[6:7]
	v_trunc_f64_e32 v[16:17], v[14:15]
	v_cmp_neq_f64_e32 vcc, v[16:17], v[14:15]
	v_cmp_eq_f64_e64 s[6:7], v[12:13], v[6:7]
	s_and_b64 vcc, s[6:7], vcc
	s_brev_b32 s18, -2
	v_cndmask_b32_e32 v11, v11, v9, vcc
	v_bfi_b32 v11, s18, v19, v11
	v_mov_b32_e32 v13, 0x7ff80000
	v_cndmask_b32_e64 v12, 0, v18, s[6:7]
	v_cndmask_b32_e64 v13, v13, v11, s[6:7]
	v_cmp_gt_f64_e64 s[6:7], 0, v[8:9]
	v_cndmask_b32_e64 v11, v11, v13, s[6:7]
	v_cndmask_b32_e64 v12, v18, v12, s[6:7]
	v_cmp_class_f64_e64 s[16:17], v[8:9], s20
	v_cmp_eq_f64_e64 s[6:7], 0, v[8:9]
	v_cmp_gt_f64_e64 s[8:9], 0, v[6:7]
	s_xor_b64 s[8:9], s[8:9], s[6:7]
	s_or_b64 s[6:7], s[16:17], s[6:7]
	s_and_b64 s[8:9], s[8:9], exec
	s_cselect_b32 s8, 0, 0x7ff00000
	v_cndmask_b32_e32 v6, 0, v9, vcc
	v_mov_b32_e32 v7, s8
	v_bfi_b32 v7, s18, v7, v6
	v_cndmask_b32_e64 v6, v12, 0, s[6:7]
	v_cndmask_b32_e64 v7, v11, v7, s[6:7]
	v_add_f64 v[4:5], -v[0:1], 1.0
	v_add_f64 v[6:7], -v[6:7], 1.0
	v_div_scale_f64 v[8:9], s[6:7], v[6:7], v[6:7], v[4:5]
	v_rcp_f64_e32 v[12:13], v[8:9]
	v_fma_f64 v[14:15], -v[8:9], v[12:13], 1.0
	v_fmac_f64_e32 v[12:13], v[12:13], v[14:15]
	v_fma_f64 v[14:15], -v[8:9], v[12:13], 1.0
	v_fmac_f64_e32 v[12:13], v[12:13], v[14:15]
	v_div_scale_f64 v[14:15], vcc, v[4:5], v[6:7], v[4:5]
	v_mul_f64 v[16:17], v[14:15], v[12:13]
	v_fma_f64 v[8:9], -v[8:9], v[16:17], v[14:15]
	s_nop 1
	v_div_fmas_f64 v[8:9], v[8:9], v[12:13], v[16:17]
	v_div_fixup_f64 v[4:5], v[8:9], v[6:7], v[4:5]
	s_cbranch_execnz .LBB0_4
.LBB0_3:
	v_div_scale_f64 v[4:5], s[6:7], v[2:3], v[2:3], 1.0
	v_rcp_f64_e32 v[6:7], v[4:5]
	v_div_scale_f64 v[8:9], vcc, 1.0, v[2:3], 1.0
	v_fma_f64 v[12:13], -v[4:5], v[6:7], 1.0
	v_fmac_f64_e32 v[6:7], v[6:7], v[12:13]
	v_fma_f64 v[12:13], -v[4:5], v[6:7], 1.0
	v_fmac_f64_e32 v[6:7], v[6:7], v[12:13]
	v_mul_f64 v[12:13], v[8:9], v[6:7]
	v_fma_f64 v[4:5], -v[4:5], v[12:13], v[8:9]
	v_div_fmas_f64 v[4:5], v[4:5], v[6:7], v[12:13]
	v_div_fixup_f64 v[4:5], v[4:5], v[2:3], 1.0
.LBB0_4:
	s_cmp_gt_i32 s11, 0
	s_cselect_b64 s[6:7], -1, 0
	s_cmp_lt_i32 s11, 1
	s_mov_b64 s[8:9], -1
	s_cbranch_scc0 .LBB0_6
; %bb.5:
	s_mov_b64 s[8:9], 0
.LBB0_6:
	s_load_dwordx2 s[16:17], s[4:5], 0x8
	s_andn2_b64 vcc, exec, s[8:9]
	v_mul_f64 v[12:13], v[4:5], s[12:13]
	s_cbranch_vccnz .LBB0_11
; %bb.7:
	v_mov_b32_e32 v4, 0x90
	s_mov_b32 s8, s11
	v_pk_mov_b32 v[2:3], v[12:13], v[12:13] op_sel:[0,1]
.LBB0_8:                                ; =>This Inner Loop Header: Depth=1
	s_add_i32 s8, s8, -1
	buffer_store_dword v3, v4, s[0:3], 0 offen offset:4
	buffer_store_dword v2, v4, s[0:3], 0 offen
	v_mul_f64 v[2:3], v[0:1], v[2:3]
	s_cmp_eq_u32 s8, 0
	v_add_u32_e32 v4, 8, v4
	s_cbranch_scc0 .LBB0_8
; %bb.9:
	v_mov_b32_e32 v0, 0x220
	v_mov_b32_e32 v1, 0
	s_mov_b32 s8, s11
.LBB0_10:                               ; =>This Inner Loop Header: Depth=1
	s_add_i32 s8, s8, -1
	buffer_store_dword v1, v0, s[0:3], 0 offen offset:4
	buffer_store_dword v1, v0, s[0:3], 0 offen
	s_cmp_eq_u32 s8, 0
	v_add_u32_e32 v0, 8, v0
	s_cbranch_scc0 .LBB0_10
.LBB0_11:
	s_load_dwordx2 s[20:21], s[4:5], 0x0
	s_load_dwordx2 s[18:19], s[4:5], 0x10
	v_lshl_add_u32 v14, v10, 5, v10
	v_ashrrev_i32_e32 v15, 31, v14
	v_mov_b32_e32 v16, 0
	s_waitcnt lgkmcnt(0)
	v_mov_b32_e32 v0, s21
	v_add_co_u32_e32 v6, vcc, s20, v14
	v_addc_co_u32_e32 v7, vcc, v0, v15, vcc
	s_cmp_gt_i32 s10, 0
	v_cndmask_b32_e64 v0, 0, 1, s[6:7]
	v_mov_b32_e32 v17, 0x3ff00000
	v_add_f64 v[8:9], -s[12:13], 1.0
	v_add_f64 v[10:11], -s[14:15], 1.0
	s_mov_b32 s22, 0
	s_cselect_b64 s[12:13], -1, 0
	s_cmp_lt_i32 s10, 1
	v_cmp_ne_u32_e64 s[4:5], 1, v0
	s_cbranch_scc1 .LBB0_25
; %bb.12:
	s_lshl_b32 s6, s11, 3
	v_mov_b32_e32 v0, 0x90
	v_add_u32_e32 v20, s6, v0
	v_mov_b32_e32 v0, 0x220
	v_mov_b32_e32 v16, 0
	v_add_u32_e32 v21, -8, v0
	v_mov_b32_e32 v17, 0x3ff00000
	v_mov_b32_e32 v19, 0
	;; [unrolled: 1-line block ×3, first 2 shown]
                                        ; implicit-def: $vgpr0_vgpr1
                                        ; implicit-def: $vgpr2_vgpr3_vgpr4_vgpr5
	s_branch .LBB0_15
.LBB0_13:                               ;   in Loop: Header=BB0_15 Depth=1
	v_pk_mov_b32 v[16:17], v[2:3], v[2:3] op_sel:[0,1]
.LBB0_14:                               ;   in Loop: Header=BB0_15 Depth=1
	s_lshl_b32 s6, s22, 2
	s_add_i32 s22, s22, 1
	v_cvt_f32_f64_e32 v2, v[16:17]
	v_add_u32_e32 v3, s6, v22
	s_cmp_eq_u32 s22, s10
	buffer_store_dword v2, v3, s[0:3], 0 offen
	s_cbranch_scc1 .LBB0_26
.LBB0_15:                               ; =>This Loop Header: Depth=1
                                        ;     Child Loop BB0_17 Depth 2
                                        ;     Child Loop BB0_22 Depth 2
	s_min_i32 s23, s11, s22
	s_cmp_eq_u32 s22, 0
	s_cbranch_scc1 .LBB0_18
; %bb.16:                               ;   in Loop: Header=BB0_15 Depth=1
	v_add_co_u32_e32 v2, vcc, s22, v6
	v_addc_co_u32_e32 v3, vcc, 0, v7, vcc
	global_load_ubyte v2, v[2:3], off
	s_lshl_b32 s8, s23, 3
	s_sub_i32 s6, s22, s23
	s_mov_b32 s7, 0
	v_subrev_u32_e32 v23, s8, v20
	v_add_u32_e32 v24, s8, v21
	s_waitcnt vmcnt(0)
	v_mul_lo_u32 v25, v2, s10
	v_pk_mov_b32 v[2:3], 0, 0
.LBB0_17:                               ;   Parent Loop BB0_15 Depth=1
                                        ; =>  This Inner Loop Header: Depth=2
	s_add_i32 s8, s6, s7
	s_ashr_i32 s9, s8, 31
	v_mov_b32_e32 v18, s9
	v_add_co_u32_e32 v26, vcc, s8, v6
	v_addc_co_u32_e32 v27, vcc, v7, v18, vcc
	global_load_ubyte v18, v[26:27], off
                                        ; kill: killed $vgpr26 killed $vgpr27
	buffer_load_dword v28, v24, s[0:3], 0 offen
	buffer_load_dword v29, v24, s[0:3], 0 offen offset:4
	buffer_load_dword v30, v23, s[0:3], 0 offen
	buffer_load_dword v31, v23, s[0:3], 0 offen offset:4
	v_mov_b32_e32 v32, s17
	s_add_i32 s7, s7, 1
	v_add_u32_e32 v23, 8, v23
	s_cmp_ge_u32 s7, s22
	s_waitcnt vmcnt(2)
	v_add_f64 v[2:3], v[2:3], v[28:29]
	v_add_u32_e32 v18, v25, v18
	v_lshlrev_b64 v[26:27], 3, v[18:19]
	v_add_co_u32_e32 v26, vcc, s16, v26
	v_addc_co_u32_e32 v27, vcc, v32, v27, vcc
	global_load_dwordx2 v[26:27], v[26:27], off
	s_waitcnt vmcnt(1)
	v_mul_f64 v[30:31], v[16:17], v[30:31]
	v_fmac_f64_e32 v[30:31], v[10:11], v[28:29]
	s_waitcnt vmcnt(0)
	v_mul_f64 v[26:27], v[26:27], v[30:31]
	buffer_store_dword v26, v24, s[0:3], 0 offen
	buffer_store_dword v27, v24, s[0:3], 0 offen offset:4
	v_add_u32_e32 v24, -8, v24
	s_cbranch_scc0 .LBB0_17
	s_branch .LBB0_19
.LBB0_18:                               ;   in Loop: Header=BB0_15 Depth=1
	v_pk_mov_b32 v[2:3], 0, 0
.LBB0_19:                               ;   in Loop: Header=BB0_15 Depth=1
	v_mul_f64 v[2:3], v[2:3], s[14:15]
	s_and_b32 s6, s22, 15
	s_cmp_eq_u32 s6, 15
	v_fmac_f64_e32 v[2:3], v[8:9], v[16:17]
	s_cbranch_scc0 .LBB0_13
; %bb.20:                               ;   in Loop: Header=BB0_15 Depth=1
	v_div_scale_f64 v[16:17], s[6:7], v[2:3], v[2:3], 1.0
	v_rcp_f64_e32 v[24:25], v[16:17]
	v_div_scale_f64 v[26:27], vcc, 1.0, v[2:3], 1.0
	s_lshr_b32 s6, s22, 4
	v_fma_f64 v[28:29], -v[16:17], v[24:25], 1.0
	v_fmac_f64_e32 v[24:25], v[24:25], v[28:29]
	v_fma_f64 v[28:29], -v[16:17], v[24:25], 1.0
	v_fmac_f64_e32 v[24:25], v[24:25], v[28:29]
	v_mul_f64 v[28:29], v[26:27], v[24:25]
	v_fma_f64 v[16:17], -v[16:17], v[28:29], v[26:27]
	s_cmp_eq_u32 s6, 0
	v_div_fmas_f64 v[16:17], v[16:17], v[24:25], v[28:29]
	s_cselect_b64 s[8:9], -1, 0
	s_cmp_eq_u32 s6, 1
	s_cselect_b64 s[6:7], -1, 0
	s_and_b64 vcc, exec, s[4:5]
	v_div_fixup_f64 v[2:3], v[16:17], v[2:3], 1.0
	s_cbranch_vccnz .LBB0_23
; %bb.21:                               ;   in Loop: Header=BB0_15 Depth=1
	s_max_i32 s23, s23, 1
	v_mov_b32_e32 v16, 0x220
.LBB0_22:                               ;   Parent Loop BB0_15 Depth=1
                                        ; =>  This Inner Loop Header: Depth=2
	buffer_load_dword v24, v16, s[0:3], 0 offen
	buffer_load_dword v25, v16, s[0:3], 0 offen offset:4
	s_add_i32 s23, s23, -1
	s_cmp_lg_u32 s23, 0
	s_waitcnt vmcnt(0)
	v_mul_f64 v[24:25], v[2:3], v[24:25]
	buffer_store_dword v24, v16, s[0:3], 0 offen
	buffer_store_dword v25, v16, s[0:3], 0 offen offset:4
	v_add_u32_e32 v16, 8, v16
	s_cbranch_scc1 .LBB0_22
.LBB0_23:                               ;   in Loop: Header=BB0_15 Depth=1
	v_mov_b32_e32 v16, 0
	v_cndmask_b32_e64 v1, v1, v3, s[8:9]
	v_cndmask_b32_e64 v0, v0, v2, s[8:9]
	;; [unrolled: 1-line block ×4, first 2 shown]
	v_mov_b32_e32 v17, 0x3ff00000
	s_branch .LBB0_14
.LBB0_24:
                                        ; implicit-def: $vgpr4_vgpr5
	s_branch .LBB0_3
.LBB0_25:
                                        ; implicit-def: $vgpr4_vgpr5
                                        ; implicit-def: $vgpr0_vgpr1_vgpr2_vgpr3
.LBB0_26:
	s_and_b64 vcc, exec, s[4:5]
	s_cbranch_vccnz .LBB0_30
; %bb.27:
	v_mov_b32_e32 v18, 0x220
	v_pk_mov_b32 v[2:3], 0, 0
	v_mov_b32_e32 v19, s14
	v_mov_b32_e32 v20, s15
	s_mov_b32 s4, s11
.LBB0_28:                               ; =>This Inner Loop Header: Depth=1
	buffer_load_dword v22, v18, s[0:3], 0 offen
	buffer_load_dword v23, v18, s[0:3], 0 offen offset:4
	s_add_i32 s4, s4, -1
	buffer_store_dword v19, v18, s[0:3], 0 offen
	buffer_store_dword v20, v18, s[0:3], 0 offen offset:4
	v_add_u32_e32 v18, 8, v18
	s_cmp_eq_u32 s4, 0
	s_waitcnt vmcnt(2)
	v_add_f64 v[2:3], v[2:3], v[22:23]
	s_cbranch_scc0 .LBB0_28
; %bb.29:
	s_andn2_b64 vcc, exec, s[12:13]
	s_cbranch_vccz .LBB0_31
	s_branch .LBB0_48
.LBB0_30:
	v_pk_mov_b32 v[2:3], 0, 0
	s_andn2_b64 vcc, exec, s[12:13]
	s_cbranch_vccnz .LBB0_48
.LBB0_31:
	v_mul_f64 v[2:3], v[2:3], s[14:15]
	v_fmac_f64_e32 v[2:3], v[8:9], v[16:17]
	v_div_scale_f64 v[16:17], s[4:5], v[2:3], v[2:3], 1.0
	v_rcp_f64_e32 v[18:19], v[16:17]
	v_div_scale_f64 v[20:21], vcc, 1.0, v[2:3], 1.0
	v_mov_b32_e32 v28, 0
	v_fma_f64 v[22:23], -v[16:17], v[18:19], 1.0
	v_fmac_f64_e32 v[18:19], v[18:19], v[22:23]
	v_fma_f64 v[22:23], -v[16:17], v[18:19], 1.0
	v_fmac_f64_e32 v[18:19], v[18:19], v[22:23]
	v_mul_f64 v[22:23], v[20:21], v[18:19]
	v_fma_f64 v[16:17], -v[16:17], v[22:23], v[20:21]
	v_div_scale_f64 v[20:21], s[4:5], v[12:13], v[12:13], 1.0
	v_rcp_f64_e32 v[24:25], v[20:21]
	v_div_fmas_f64 v[16:17], v[16:17], v[18:19], v[22:23]
	v_div_fixup_f64 v[2:3], v[16:17], v[2:3], 1.0
	s_add_i32 s4, s10, -1
	v_fma_f64 v[16:17], -v[20:21], v[24:25], 1.0
	v_fmac_f64_e32 v[24:25], v[24:25], v[16:17]
	v_fma_f64 v[16:17], -v[20:21], v[24:25], 1.0
	v_fmac_f64_e32 v[24:25], v[24:25], v[16:17]
	v_div_scale_f64 v[16:17], vcc, 1.0, v[12:13], 1.0
	v_mul_f64 v[18:19], v[16:17], v[24:25]
	s_ashr_i32 s5, s10, 31
	v_fma_f64 v[16:17], -v[20:21], v[18:19], v[16:17]
	s_add_u32 s6, s20, s10
	v_div_fmas_f64 v[16:17], v[16:17], v[24:25], v[18:19]
	s_addc_u32 s5, s21, s5
	v_div_fixup_f64 v[12:13], v[16:17], v[12:13], 1.0
	v_mov_b32_e32 v17, s5
	v_add_co_u32_e32 v14, vcc, s6, v14
	v_addc_co_u32_e32 v15, vcc, v17, v15, vcc
	v_mov_b32_e32 v16, 0x90
	v_add_co_u32_e32 v14, vcc, -2, v14
	v_or_b32_e32 v26, 8, v16
	v_addc_co_u32_e32 v15, vcc, -1, v15, vcc
	v_add_u32_e32 v27, -8, v16
	v_mov_b32_e32 v17, 0
	s_mov_b32 s5, s10
	v_pk_mov_b32 v[18:19], v[8:9], v[8:9] op_sel:[0,1]
	s_branch .LBB0_33
.LBB0_32:                               ;   in Loop: Header=BB0_33 Depth=1
	v_mul_f64 v[20:21], v[20:21], v[22:23]
	v_fmac_f64_e32 v[20:21], v[8:9], v[18:19]
	s_add_i32 s4, s4, -1
	v_add_co_u32_e32 v14, vcc, -1, v14
	v_addc_co_u32_e32 v15, vcc, -1, v15, vcc
	s_cmp_gt_i32 s5, 1
	s_mov_b32 s5, s6
	v_pk_mov_b32 v[18:19], v[20:21], v[20:21] op_sel:[0,1]
	s_cbranch_scc0 .LBB0_44
.LBB0_33:                               ; =>This Loop Header: Depth=1
                                        ;     Child Loop BB0_36 Depth 2
                                        ;     Child Loop BB0_40 Depth 2
	s_add_i32 s6, s5, -1
	s_lshl_b32 s7, s6, 2
	v_add_u32_e32 v16, s7, v28
	buffer_load_dword v20, v16, s[0:3], 0 offen
	s_min_i32 s7, s11, s4
	s_min_i32 s8, s11, s6
	s_and_b32 s9, s6, 15
	s_cmp_lg_u32 s9, 15
	s_waitcnt vmcnt(0)
	v_cvt_f64_f32_e32 v[20:21], v20
	v_mul_f64 v[20:21], v[18:19], v[20:21]
	v_mul_f64 v[20:21], v[2:3], v[20:21]
	v_cvt_f32_f64_e32 v20, v[20:21]
	v_sub_f32_e32 v20, 1.0, v20
	buffer_store_dword v20, v16, s[0:3], 0 offen
	s_cbranch_scc1 .LBB0_38
; %bb.34:                               ;   in Loop: Header=BB0_33 Depth=1
	s_lshr_b32 s9, s6, 4
	s_cmp_eq_u32 s9, 1
	s_cselect_b64 vcc, -1, 0
	v_cndmask_b32_e32 v21, v1, v5, vcc
	s_cmp_lt_i32 s8, 1
	v_cndmask_b32_e32 v20, v0, v4, vcc
	s_cbranch_scc1 .LBB0_37
; %bb.35:                               ;   in Loop: Header=BB0_33 Depth=1
	v_mov_b32_e32 v16, 0x220
	s_mov_b32 s9, s7
.LBB0_36:                               ;   Parent Loop BB0_33 Depth=1
                                        ; =>  This Inner Loop Header: Depth=2
	buffer_load_dword v22, v16, s[0:3], 0 offen
	buffer_load_dword v23, v16, s[0:3], 0 offen offset:4
	s_add_i32 s9, s9, -1
	s_cmp_eq_u32 s9, 0
	s_waitcnt vmcnt(0)
	v_mul_f64 v[22:23], v[20:21], v[22:23]
	buffer_store_dword v22, v16, s[0:3], 0 offen
	buffer_store_dword v23, v16, s[0:3], 0 offen offset:4
	v_add_u32_e32 v16, 8, v16
	s_cbranch_scc0 .LBB0_36
.LBB0_37:                               ;   in Loop: Header=BB0_33 Depth=1
	v_mul_f64 v[18:19], v[18:19], v[20:21]
.LBB0_38:                               ;   in Loop: Header=BB0_33 Depth=1
	s_cmp_lt_i32 s8, 1
	s_cbranch_scc1 .LBB0_42
; %bb.39:                               ;   in Loop: Header=BB0_33 Depth=1
	v_add_co_u32_e32 v20, vcc, s6, v6
	v_addc_co_u32_e32 v21, vcc, 0, v7, vcc
	global_load_ubyte v16, v[20:21], off
	s_lshl_b32 s8, s7, 3
	v_mul_f64 v[22:23], v[18:19], s[14:15]
	v_mov_b32_e32 v29, 0x220
	v_pk_mov_b32 v[20:21], 0, 0
	v_add_u32_e32 v30, s8, v27
	v_pk_mov_b32 v[24:25], v[14:15], v[14:15] op_sel:[0,1]
	s_waitcnt vmcnt(0)
	v_mul_lo_u32 v31, v16, s10
.LBB0_40:                               ;   Parent Loop BB0_33 Depth=1
                                        ; =>  This Inner Loop Header: Depth=2
	global_load_ubyte v16, v[24:25], off
	v_mov_b32_e32 v35, s17
	buffer_load_dword v32, v29, s[0:3], 0 offen
	buffer_load_dword v33, v29, s[0:3], 0 offen offset:4
	buffer_load_dword v34, v30, s[0:3], 0 offen
	s_add_i32 s7, s7, -1
	s_cmp_eq_u32 s7, 0
	s_waitcnt vmcnt(3)
	v_add_u32_e32 v16, v31, v16
	v_lshlrev_b64 v[36:37], 3, v[16:17]
	v_add_co_u32_e32 v36, vcc, s16, v36
	v_addc_co_u32_e32 v37, vcc, v35, v37, vcc
	buffer_load_dword v35, v30, s[0:3], 0 offen offset:4
	global_load_dwordx2 v[38:39], v[36:37], off
	v_add_co_u32_e32 v24, vcc, -1, v24
	v_addc_co_u32_e32 v25, vcc, -1, v25, vcc
	v_add_u32_e32 v30, -8, v30
                                        ; kill: killed $vgpr36 killed $vgpr37
	s_waitcnt vmcnt(0)
	v_mul_f64 v[32:33], v[32:33], v[38:39]
	v_fmac_f64_e32 v[20:21], v[34:35], v[32:33]
	v_fma_f64 v[32:33], v[10:11], v[32:33], v[22:23]
	buffer_store_dword v32, v29, s[0:3], 0 offen
	buffer_store_dword v33, v29, s[0:3], 0 offen offset:4
	v_add_u32_e32 v29, 8, v29
	s_cbranch_scc0 .LBB0_40
; %bb.41:                               ;   in Loop: Header=BB0_33 Depth=1
	v_mov_b32_e32 v22, 0
	s_cmp_le_i32 s6, s11
	v_mov_b32_e32 v23, 0x3ff00000
	s_cbranch_scc0 .LBB0_32
	s_branch .LBB0_43
.LBB0_42:                               ;   in Loop: Header=BB0_33 Depth=1
	v_pk_mov_b32 v[20:21], 0, 0
	v_mov_b32_e32 v22, 0
	s_cmp_le_i32 s6, s11
	v_mov_b32_e32 v23, 0x3ff00000
	s_cbranch_scc0 .LBB0_32
.LBB0_43:                               ;   in Loop: Header=BB0_33 Depth=1
	s_sub_i32 s7, s11, s5
	s_lshl_b32 s7, s7, 3
	v_add_u32_e32 v16, s7, v26
	buffer_load_dword v22, v16, s[0:3], 0 offen
	buffer_load_dword v23, v16, s[0:3], 0 offen offset:4
	s_waitcnt vmcnt(0)
	v_mul_f64 v[22:23], v[12:13], v[22:23]
	s_branch .LBB0_32
.LBB0_44:
	v_mov_b32_e32 v0, 0
	s_branch .LBB0_46
.LBB0_45:                               ;   in Loop: Header=BB0_46 Depth=1
	s_or_b64 exec, exec, s[4:5]
	s_add_i32 s10, s10, -1
	v_add_co_u32_e32 v6, vcc, 1, v6
	v_add_u32_e32 v0, 4, v0
	s_cmp_lg_u32 s10, 0
	v_addc_co_u32_e32 v7, vcc, 0, v7, vcc
	s_cbranch_scc0 .LBB0_48
.LBB0_46:                               ; =>This Inner Loop Header: Depth=1
	buffer_load_dword v1, v0, s[0:3], 0 offen
	s_waitcnt vmcnt(0)
	v_cmp_le_f32_e32 vcc, 0.5, v1
	s_and_saveexec_b64 s[4:5], vcc
	s_cbranch_execz .LBB0_45
; %bb.47:                               ;   in Loop: Header=BB0_46 Depth=1
	global_load_ubyte v1, v[6:7], off
	v_mov_b32_e32 v3, s19
	s_waitcnt vmcnt(0)
	v_and_b32_e32 v1, 0xffff, v1
	v_add_co_u32_e32 v2, vcc, s18, v1
	v_addc_co_u32_e32 v3, vcc, 0, v3, vcc
	global_load_ubyte v1, v[2:3], off
	s_waitcnt vmcnt(0)
	global_store_byte v[6:7], v1, off
	s_branch .LBB0_45
.LBB0_48:
	s_endpgm
	.section	.rodata,"a",@progbits
	.p2align	6, 0x0
	.amdhsa_kernel _Z13maskSequencesPhPKdPKhiiddddddi
		.amdhsa_group_segment_fixed_size 0
		.amdhsa_private_segment_fixed_size 960
		.amdhsa_kernarg_size 344
		.amdhsa_user_sgpr_count 8
		.amdhsa_user_sgpr_private_segment_buffer 1
		.amdhsa_user_sgpr_dispatch_ptr 0
		.amdhsa_user_sgpr_queue_ptr 0
		.amdhsa_user_sgpr_kernarg_segment_ptr 1
		.amdhsa_user_sgpr_dispatch_id 0
		.amdhsa_user_sgpr_flat_scratch_init 1
		.amdhsa_user_sgpr_kernarg_preload_length 0
		.amdhsa_user_sgpr_kernarg_preload_offset 0
		.amdhsa_user_sgpr_private_segment_size 0
		.amdhsa_uses_dynamic_stack 0
		.amdhsa_system_sgpr_private_segment_wavefront_offset 1
		.amdhsa_system_sgpr_workgroup_id_x 1
		.amdhsa_system_sgpr_workgroup_id_y 0
		.amdhsa_system_sgpr_workgroup_id_z 0
		.amdhsa_system_sgpr_workgroup_info 0
		.amdhsa_system_vgpr_workitem_id 0
		.amdhsa_next_free_vgpr 40
		.amdhsa_next_free_sgpr 24
		.amdhsa_accum_offset 40
		.amdhsa_reserve_vcc 1
		.amdhsa_reserve_flat_scratch 0
		.amdhsa_float_round_mode_32 0
		.amdhsa_float_round_mode_16_64 0
		.amdhsa_float_denorm_mode_32 3
		.amdhsa_float_denorm_mode_16_64 3
		.amdhsa_dx10_clamp 1
		.amdhsa_ieee_mode 1
		.amdhsa_fp16_overflow 0
		.amdhsa_tg_split 0
		.amdhsa_exception_fp_ieee_invalid_op 0
		.amdhsa_exception_fp_denorm_src 0
		.amdhsa_exception_fp_ieee_div_zero 0
		.amdhsa_exception_fp_ieee_overflow 0
		.amdhsa_exception_fp_ieee_underflow 0
		.amdhsa_exception_fp_ieee_inexact 0
		.amdhsa_exception_int_div_zero 0
	.end_amdhsa_kernel
	.text
.Lfunc_end0:
	.size	_Z13maskSequencesPhPKdPKhiiddddddi, .Lfunc_end0-_Z13maskSequencesPhPKdPKhiiddddddi
                                        ; -- End function
	.section	.AMDGPU.csdata,"",@progbits
; Kernel info:
; codeLenInByte = 3948
; NumSgprs: 28
; NumVgprs: 40
; NumAgprs: 0
; TotalNumVgprs: 40
; ScratchSize: 960
; MemoryBound: 0
; FloatMode: 240
; IeeeMode: 1
; LDSByteSize: 0 bytes/workgroup (compile time only)
; SGPRBlocks: 3
; VGPRBlocks: 4
; NumSGPRsForWavesPerEU: 28
; NumVGPRsForWavesPerEU: 40
; AccumOffset: 40
; Occupancy: 8
; WaveLimiterHint : 1
; COMPUTE_PGM_RSRC2:SCRATCH_EN: 1
; COMPUTE_PGM_RSRC2:USER_SGPR: 8
; COMPUTE_PGM_RSRC2:TRAP_HANDLER: 0
; COMPUTE_PGM_RSRC2:TGID_X_EN: 1
; COMPUTE_PGM_RSRC2:TGID_Y_EN: 0
; COMPUTE_PGM_RSRC2:TGID_Z_EN: 0
; COMPUTE_PGM_RSRC2:TIDIG_COMP_CNT: 0
; COMPUTE_PGM_RSRC3_GFX90A:ACCUM_OFFSET: 9
; COMPUTE_PGM_RSRC3_GFX90A:TG_SPLIT: 0
	.text
	.p2alignl 6, 3212836864
	.fill 256, 4, 3212836864
	.protected	_ZN7Masking8bit_maskE   ; @_ZN7Masking8bit_maskE
	.type	_ZN7Masking8bit_maskE,@object
	.section	.rodata,"a",@progbits
	.globl	_ZN7Masking8bit_maskE
_ZN7Masking8bit_maskE:
	.byte	128                             ; 0x80
	.size	_ZN7Masking8bit_maskE, 1

	.type	__hip_cuid_f4c392f476bd2a10,@object ; @__hip_cuid_f4c392f476bd2a10
	.section	.bss,"aw",@nobits
	.globl	__hip_cuid_f4c392f476bd2a10
__hip_cuid_f4c392f476bd2a10:
	.byte	0                               ; 0x0
	.size	__hip_cuid_f4c392f476bd2a10, 1

	.ident	"AMD clang version 19.0.0git (https://github.com/RadeonOpenCompute/llvm-project roc-6.4.0 25133 c7fe45cf4b819c5991fe208aaa96edf142730f1d)"
	.section	".note.GNU-stack","",@progbits
	.addrsig
	.addrsig_sym __hip_cuid_f4c392f476bd2a10
	.amdgpu_metadata
---
amdhsa.kernels:
  - .agpr_count:     0
    .args:
      - .address_space:  global
        .offset:         0
        .size:           8
        .value_kind:     global_buffer
      - .actual_access:  read_only
        .address_space:  global
        .offset:         8
        .size:           8
        .value_kind:     global_buffer
      - .actual_access:  read_only
        .address_space:  global
        .offset:         16
        .size:           8
        .value_kind:     global_buffer
      - .offset:         24
        .size:           4
        .value_kind:     by_value
      - .offset:         28
        .size:           4
        .value_kind:     by_value
      - .offset:         32
        .size:           8
        .value_kind:     by_value
      - .offset:         40
        .size:           8
        .value_kind:     by_value
      - .offset:         48
        .size:           8
        .value_kind:     by_value
      - .offset:         56
        .size:           8
        .value_kind:     by_value
      - .offset:         64
        .size:           8
        .value_kind:     by_value
      - .offset:         72
        .size:           8
        .value_kind:     by_value
      - .offset:         80
        .size:           4
        .value_kind:     by_value
      - .offset:         88
        .size:           4
        .value_kind:     hidden_block_count_x
      - .offset:         92
        .size:           4
        .value_kind:     hidden_block_count_y
      - .offset:         96
        .size:           4
        .value_kind:     hidden_block_count_z
      - .offset:         100
        .size:           2
        .value_kind:     hidden_group_size_x
      - .offset:         102
        .size:           2
        .value_kind:     hidden_group_size_y
      - .offset:         104
        .size:           2
        .value_kind:     hidden_group_size_z
      - .offset:         106
        .size:           2
        .value_kind:     hidden_remainder_x
      - .offset:         108
        .size:           2
        .value_kind:     hidden_remainder_y
      - .offset:         110
        .size:           2
        .value_kind:     hidden_remainder_z
      - .offset:         128
        .size:           8
        .value_kind:     hidden_global_offset_x
      - .offset:         136
        .size:           8
        .value_kind:     hidden_global_offset_y
      - .offset:         144
        .size:           8
        .value_kind:     hidden_global_offset_z
      - .offset:         152
        .size:           2
        .value_kind:     hidden_grid_dims
    .group_segment_fixed_size: 0
    .kernarg_segment_align: 8
    .kernarg_segment_size: 344
    .language:       OpenCL C
    .language_version:
      - 2
      - 0
    .max_flat_workgroup_size: 1024
    .name:           _Z13maskSequencesPhPKdPKhiiddddddi
    .private_segment_fixed_size: 960
    .sgpr_count:     28
    .sgpr_spill_count: 0
    .symbol:         _Z13maskSequencesPhPKdPKhiiddddddi.kd
    .uniform_work_group_size: 1
    .uses_dynamic_stack: false
    .vgpr_count:     40
    .vgpr_spill_count: 0
    .wavefront_size: 64
amdhsa.target:   amdgcn-amd-amdhsa--gfx90a
amdhsa.version:
  - 1
  - 2
...

	.end_amdgpu_metadata
